;; amdgpu-corpus repo=ROCm/rocFFT kind=compiled arch=gfx906 opt=O3
	.text
	.amdgcn_target "amdgcn-amd-amdhsa--gfx906"
	.amdhsa_code_object_version 6
	.protected	fft_rtc_fwd_len858_factors_13_11_6_wgs_234_tpt_78_halfLds_sp_op_CI_CI_unitstride_sbrr_dirReg ; -- Begin function fft_rtc_fwd_len858_factors_13_11_6_wgs_234_tpt_78_halfLds_sp_op_CI_CI_unitstride_sbrr_dirReg
	.globl	fft_rtc_fwd_len858_factors_13_11_6_wgs_234_tpt_78_halfLds_sp_op_CI_CI_unitstride_sbrr_dirReg
	.p2align	8
	.type	fft_rtc_fwd_len858_factors_13_11_6_wgs_234_tpt_78_halfLds_sp_op_CI_CI_unitstride_sbrr_dirReg,@function
fft_rtc_fwd_len858_factors_13_11_6_wgs_234_tpt_78_halfLds_sp_op_CI_CI_unitstride_sbrr_dirReg: ; @fft_rtc_fwd_len858_factors_13_11_6_wgs_234_tpt_78_halfLds_sp_op_CI_CI_unitstride_sbrr_dirReg
; %bb.0:
	v_mul_u32_u24_e32 v1, 0x349, v0
	s_load_dwordx4 s[12:15], s[4:5], 0x58
	s_load_dwordx4 s[8:11], s[4:5], 0x0
	;; [unrolled: 1-line block ×3, first 2 shown]
	v_lshrrev_b32_e32 v1, 16, v1
	v_mad_u64_u32 v[7:8], s[0:1], s6, 3, v[1:2]
	v_mov_b32_e32 v3, 0
	s_waitcnt lgkmcnt(0)
	v_cmp_lt_u64_e64 s[0:1], s[10:11], 2
	v_mov_b32_e32 v36, 0
	v_mov_b32_e32 v8, v3
	;; [unrolled: 1-line block ×5, first 2 shown]
	s_and_b64 vcc, exec, s[0:1]
	v_mov_b32_e32 v2, v37
	v_mov_b32_e32 v6, v8
	s_cbranch_vccnz .LBB0_8
; %bb.1:
	s_load_dwordx2 s[0:1], s[4:5], 0x10
	s_add_u32 s2, s18, 8
	s_addc_u32 s3, s19, 0
	s_add_u32 s6, s16, 8
	s_addc_u32 s7, s17, 0
	v_mov_b32_e32 v36, 0
	s_waitcnt lgkmcnt(0)
	s_add_u32 s20, s0, 8
	v_mov_b32_e32 v37, 0
	v_mov_b32_e32 v1, v36
	;; [unrolled: 1-line block ×3, first 2 shown]
	s_addc_u32 s21, s1, 0
	s_mov_b64 s[22:23], 1
	v_mov_b32_e32 v2, v37
	v_mov_b32_e32 v8, v7
.LBB0_2:                                ; =>This Inner Loop Header: Depth=1
	s_load_dwordx2 s[24:25], s[20:21], 0x0
                                        ; implicit-def: $vgpr5_vgpr6
	s_waitcnt lgkmcnt(0)
	v_or_b32_e32 v4, s25, v9
	v_cmp_ne_u64_e32 vcc, 0, v[3:4]
	s_and_saveexec_b64 s[0:1], vcc
	s_xor_b64 s[26:27], exec, s[0:1]
	s_cbranch_execz .LBB0_4
; %bb.3:                                ;   in Loop: Header=BB0_2 Depth=1
	v_cvt_f32_u32_e32 v4, s24
	v_cvt_f32_u32_e32 v5, s25
	s_sub_u32 s0, 0, s24
	s_subb_u32 s1, 0, s25
	v_mac_f32_e32 v4, 0x4f800000, v5
	v_rcp_f32_e32 v4, v4
	v_mul_f32_e32 v4, 0x5f7ffffc, v4
	v_mul_f32_e32 v5, 0x2f800000, v4
	v_trunc_f32_e32 v5, v5
	v_mac_f32_e32 v4, 0xcf800000, v5
	v_cvt_u32_f32_e32 v5, v5
	v_cvt_u32_f32_e32 v4, v4
	v_mul_lo_u32 v6, s0, v5
	v_mul_hi_u32 v10, s0, v4
	v_mul_lo_u32 v12, s1, v4
	v_mul_lo_u32 v11, s0, v4
	v_add_u32_e32 v6, v10, v6
	v_add_u32_e32 v6, v6, v12
	v_mul_hi_u32 v10, v4, v11
	v_mul_lo_u32 v12, v4, v6
	v_mul_hi_u32 v14, v4, v6
	v_mul_hi_u32 v13, v5, v11
	v_mul_lo_u32 v11, v5, v11
	v_mul_hi_u32 v15, v5, v6
	v_add_co_u32_e32 v10, vcc, v10, v12
	v_addc_co_u32_e32 v12, vcc, 0, v14, vcc
	v_mul_lo_u32 v6, v5, v6
	v_add_co_u32_e32 v10, vcc, v10, v11
	v_addc_co_u32_e32 v10, vcc, v12, v13, vcc
	v_addc_co_u32_e32 v11, vcc, 0, v15, vcc
	v_add_co_u32_e32 v6, vcc, v10, v6
	v_addc_co_u32_e32 v10, vcc, 0, v11, vcc
	v_add_co_u32_e32 v4, vcc, v4, v6
	v_addc_co_u32_e32 v5, vcc, v5, v10, vcc
	v_mul_lo_u32 v6, s0, v5
	v_mul_hi_u32 v10, s0, v4
	v_mul_lo_u32 v11, s1, v4
	v_mul_lo_u32 v12, s0, v4
	v_add_u32_e32 v6, v10, v6
	v_add_u32_e32 v6, v6, v11
	v_mul_lo_u32 v13, v4, v6
	v_mul_hi_u32 v14, v4, v12
	v_mul_hi_u32 v15, v4, v6
	;; [unrolled: 1-line block ×3, first 2 shown]
	v_mul_lo_u32 v12, v5, v12
	v_mul_hi_u32 v10, v5, v6
	v_add_co_u32_e32 v13, vcc, v14, v13
	v_addc_co_u32_e32 v14, vcc, 0, v15, vcc
	v_mul_lo_u32 v6, v5, v6
	v_add_co_u32_e32 v12, vcc, v13, v12
	v_addc_co_u32_e32 v11, vcc, v14, v11, vcc
	v_addc_co_u32_e32 v10, vcc, 0, v10, vcc
	v_add_co_u32_e32 v6, vcc, v11, v6
	v_addc_co_u32_e32 v10, vcc, 0, v10, vcc
	v_add_co_u32_e32 v6, vcc, v4, v6
	v_addc_co_u32_e32 v10, vcc, v5, v10, vcc
	v_mad_u64_u32 v[4:5], s[0:1], v8, v10, 0
	v_mul_hi_u32 v11, v8, v6
	v_add_co_u32_e32 v12, vcc, v11, v4
	v_addc_co_u32_e32 v13, vcc, 0, v5, vcc
	v_mad_u64_u32 v[4:5], s[0:1], v9, v6, 0
	v_mad_u64_u32 v[10:11], s[0:1], v9, v10, 0
	v_add_co_u32_e32 v4, vcc, v12, v4
	v_addc_co_u32_e32 v4, vcc, v13, v5, vcc
	v_addc_co_u32_e32 v5, vcc, 0, v11, vcc
	v_add_co_u32_e32 v10, vcc, v4, v10
	v_addc_co_u32_e32 v6, vcc, 0, v5, vcc
	v_mul_lo_u32 v11, s25, v10
	v_mul_lo_u32 v12, s24, v6
	v_mad_u64_u32 v[4:5], s[0:1], s24, v10, 0
	v_add3_u32 v5, v5, v12, v11
	v_sub_u32_e32 v11, v9, v5
	v_mov_b32_e32 v12, s25
	v_sub_co_u32_e32 v4, vcc, v8, v4
	v_subb_co_u32_e64 v11, s[0:1], v11, v12, vcc
	v_subrev_co_u32_e64 v12, s[0:1], s24, v4
	v_subbrev_co_u32_e64 v11, s[0:1], 0, v11, s[0:1]
	v_cmp_le_u32_e64 s[0:1], s25, v11
	v_cndmask_b32_e64 v13, 0, -1, s[0:1]
	v_cmp_le_u32_e64 s[0:1], s24, v12
	v_cndmask_b32_e64 v12, 0, -1, s[0:1]
	v_cmp_eq_u32_e64 s[0:1], s25, v11
	v_cndmask_b32_e64 v11, v13, v12, s[0:1]
	v_add_co_u32_e64 v12, s[0:1], 2, v10
	v_addc_co_u32_e64 v13, s[0:1], 0, v6, s[0:1]
	v_add_co_u32_e64 v14, s[0:1], 1, v10
	v_addc_co_u32_e64 v15, s[0:1], 0, v6, s[0:1]
	v_subb_co_u32_e32 v5, vcc, v9, v5, vcc
	v_cmp_ne_u32_e64 s[0:1], 0, v11
	v_cmp_le_u32_e32 vcc, s25, v5
	v_cndmask_b32_e64 v11, v15, v13, s[0:1]
	v_cndmask_b32_e64 v13, 0, -1, vcc
	v_cmp_le_u32_e32 vcc, s24, v4
	v_cndmask_b32_e64 v4, 0, -1, vcc
	v_cmp_eq_u32_e32 vcc, s25, v5
	v_cndmask_b32_e32 v4, v13, v4, vcc
	v_cmp_ne_u32_e32 vcc, 0, v4
	v_cndmask_b32_e64 v4, v14, v12, s[0:1]
	v_cndmask_b32_e32 v6, v6, v11, vcc
	v_cndmask_b32_e32 v5, v10, v4, vcc
.LBB0_4:                                ;   in Loop: Header=BB0_2 Depth=1
	s_andn2_saveexec_b64 s[0:1], s[26:27]
	s_cbranch_execz .LBB0_6
; %bb.5:                                ;   in Loop: Header=BB0_2 Depth=1
	v_cvt_f32_u32_e32 v4, s24
	s_sub_i32 s26, 0, s24
	v_rcp_iflag_f32_e32 v4, v4
	v_mul_f32_e32 v4, 0x4f7ffffe, v4
	v_cvt_u32_f32_e32 v4, v4
	v_mul_lo_u32 v5, s26, v4
	v_mul_hi_u32 v5, v4, v5
	v_add_u32_e32 v4, v4, v5
	v_mul_hi_u32 v4, v8, v4
	v_mul_lo_u32 v5, v4, s24
	v_add_u32_e32 v6, 1, v4
	v_sub_u32_e32 v5, v8, v5
	v_subrev_u32_e32 v10, s24, v5
	v_cmp_le_u32_e32 vcc, s24, v5
	v_cndmask_b32_e32 v5, v5, v10, vcc
	v_cndmask_b32_e32 v4, v4, v6, vcc
	v_add_u32_e32 v6, 1, v4
	v_cmp_le_u32_e32 vcc, s24, v5
	v_cndmask_b32_e32 v5, v4, v6, vcc
	v_mov_b32_e32 v6, v3
.LBB0_6:                                ;   in Loop: Header=BB0_2 Depth=1
	s_or_b64 exec, exec, s[0:1]
	v_mul_lo_u32 v4, v6, s24
	v_mul_lo_u32 v12, v5, s25
	v_mad_u64_u32 v[10:11], s[0:1], v5, s24, 0
	s_load_dwordx2 s[0:1], s[6:7], 0x0
	s_load_dwordx2 s[24:25], s[2:3], 0x0
	v_add3_u32 v4, v11, v12, v4
	v_sub_co_u32_e32 v8, vcc, v8, v10
	v_subb_co_u32_e32 v4, vcc, v9, v4, vcc
	s_waitcnt lgkmcnt(0)
	v_mul_lo_u32 v9, s0, v4
	v_mul_lo_u32 v10, s1, v8
	v_mad_u64_u32 v[36:37], s[0:1], s0, v8, v[36:37]
	s_add_u32 s22, s22, 1
	s_addc_u32 s23, s23, 0
	s_add_u32 s2, s2, 8
	v_mul_lo_u32 v4, s24, v4
	v_mul_lo_u32 v11, s25, v8
	v_mad_u64_u32 v[1:2], s[0:1], s24, v8, v[1:2]
	v_add3_u32 v37, v10, v37, v9
	s_addc_u32 s3, s3, 0
	v_mov_b32_e32 v8, s10
	s_add_u32 s6, s6, 8
	v_mov_b32_e32 v9, s11
	s_addc_u32 s7, s7, 0
	v_cmp_ge_u64_e32 vcc, s[22:23], v[8:9]
	s_add_u32 s20, s20, 8
	v_add3_u32 v2, v11, v2, v4
	s_addc_u32 s21, s21, 0
	s_cbranch_vccnz .LBB0_8
; %bb.7:                                ;   in Loop: Header=BB0_2 Depth=1
	v_mov_b32_e32 v9, v6
	v_mov_b32_e32 v8, v5
	s_branch .LBB0_2
.LBB0_8:
	s_load_dwordx2 s[0:1], s[4:5], 0x28
	s_mov_b32 s4, 0x3483484
	v_mul_hi_u32 v3, v0, s4
	s_lshl_b64 s[2:3], s[10:11], 3
	s_add_u32 s4, s18, s2
	s_waitcnt lgkmcnt(0)
	v_cmp_gt_u64_e32 vcc, s[0:1], v[5:6]
	v_mul_u32_u24_e32 v3, 0x4e, v3
	v_sub_u32_e32 v3, v0, v3
	s_movk_i32 s0, 0x42
	v_cmp_gt_u32_e64 s[0:1], s0, v3
	s_addc_u32 s5, s19, s3
	s_and_b64 s[10:11], vcc, s[0:1]
	v_mov_b32_e32 v11, 0
	v_mov_b32_e32 v10, 0
                                        ; implicit-def: $vgpr13
                                        ; implicit-def: $vgpr15
                                        ; implicit-def: $vgpr17
                                        ; implicit-def: $vgpr19
                                        ; implicit-def: $vgpr21
                                        ; implicit-def: $vgpr23
                                        ; implicit-def: $vgpr35
                                        ; implicit-def: $vgpr33
                                        ; implicit-def: $vgpr31
                                        ; implicit-def: $vgpr29
                                        ; implicit-def: $vgpr27
                                        ; implicit-def: $vgpr25
	s_and_saveexec_b64 s[6:7], s[10:11]
	s_cbranch_execz .LBB0_10
; %bb.9:
	s_add_u32 s2, s16, s2
	s_addc_u32 s3, s17, s3
	s_load_dwordx2 s[2:3], s[2:3], 0x0
	v_mov_b32_e32 v11, s13
	v_mov_b32_e32 v4, 0
	s_waitcnt lgkmcnt(0)
	v_mul_lo_u32 v0, s3, v5
	v_mul_lo_u32 v10, s2, v6
	v_mad_u64_u32 v[8:9], s[2:3], s2, v5, 0
	v_add3_u32 v9, v9, v10, v0
	v_lshlrev_b64 v[8:9], 3, v[8:9]
	v_add_co_u32_e64 v0, s[2:3], s12, v8
	v_addc_co_u32_e64 v10, s[2:3], v11, v9, s[2:3]
	v_lshlrev_b64 v[8:9], 3, v[36:37]
	v_add_co_u32_e64 v0, s[2:3], v0, v8
	v_addc_co_u32_e64 v10, s[2:3], v10, v9, s[2:3]
	;; [unrolled: 3-line block ×3, first 2 shown]
	s_movk_i32 s2, 0x1000
	v_add_co_u32_e64 v36, s[2:3], s2, v8
	global_load_dwordx2 v[10:11], v[8:9], off
	global_load_dwordx2 v[12:13], v[8:9], off offset:528
	global_load_dwordx2 v[14:15], v[8:9], off offset:1056
	;; [unrolled: 1-line block ×3, first 2 shown]
	v_addc_co_u32_e64 v37, s[2:3], 0, v9, s[2:3]
	global_load_dwordx2 v[18:19], v[8:9], off offset:2112
	global_load_dwordx2 v[20:21], v[8:9], off offset:2640
	;; [unrolled: 1-line block ×9, first 2 shown]
.LBB0_10:
	s_or_b64 exec, exec, s[6:7]
	s_mov_b32 s2, 0xaaaaaaab
	v_mul_hi_u32 v0, v7, s2
	s_waitcnt vmcnt(0)
	v_add_f32_e32 v4, v12, v34
	v_mul_f32_e32 v44, 0x3f116cb1, v4
	v_sub_f32_e32 v38, v13, v35
	v_lshrrev_b32_e32 v0, 1, v0
	v_lshl_add_u32 v0, v0, 1, v0
	v_sub_u32_e32 v0, v7, v0
	v_mov_b32_e32 v7, v44
	v_fmac_f32_e32 v7, 0xbf52af12, v38
	v_add_f32_e32 v8, v10, v7
	v_add_f32_e32 v7, v14, v32
	v_mul_f32_e32 v46, 0xbeb58ec6, v7
	v_sub_f32_e32 v39, v15, v33
	v_mov_b32_e32 v9, v46
	v_fmac_f32_e32 v9, 0xbf6f5d39, v39
	v_add_f32_e32 v8, v8, v9
	v_add_f32_e32 v9, v16, v30
	v_mul_f32_e32 v47, 0xbf788fa5, v9
	v_sub_f32_e32 v40, v17, v31
	;; [unrolled: 6-line block ×5, first 2 shown]
	v_mov_b32_e32 v51, v50
	v_mul_u32_u24_e32 v0, 0x35a, v0
	v_fmac_f32_e32 v51, 0x3eedf032, v45
	s_mov_b32 s13, 0x3f116cb1
	s_mov_b32 s12, 0xbeb58ec6
	;; [unrolled: 1-line block ×6, first 2 shown]
	v_add_f32_e32 v8, v8, v51
	v_lshlrev_b32_e32 v0, 2, v0
	s_and_saveexec_b64 s[2:3], s[0:1]
	s_cbranch_execz .LBB0_12
; %bb.11:
	v_mul_f32_e32 v51, 0xbe750f2a, v38
	v_mov_b32_e32 v52, v51
	v_mul_f32_e32 v53, 0x3eedf032, v39
	v_fmac_f32_e32 v52, 0xbf788fa5, v4
	v_mov_b32_e32 v54, v53
	v_add_f32_e32 v52, v10, v52
	v_fmac_f32_e32 v54, 0x3f62ad3f, v7
	v_add_f32_e32 v52, v52, v54
	v_mul_f32_e32 v54, 0xbf29c268, v40
	v_mov_b32_e32 v55, v54
	v_fmac_f32_e32 v55, 0xbf3f9e67, v9
	v_add_f32_e32 v52, v52, v55
	v_mul_f32_e32 v55, 0x3f52af12, v41
	v_mov_b32_e32 v56, v55
	v_fmac_f32_e32 v56, 0x3f116cb1, v36
	v_fma_f32 v51, v4, s11, -v51
	v_add_f32_e32 v52, v52, v56
	v_mul_f32_e32 v56, 0xbf6f5d39, v43
	v_add_f32_e32 v51, v10, v51
	v_fma_f32 v53, v7, s6, -v53
	v_mov_b32_e32 v57, v56
	v_add_f32_e32 v51, v51, v53
	v_fma_f32 v53, v9, s10, -v54
	v_fmac_f32_e32 v57, 0xbeb58ec6, v37
	v_add_f32_e32 v51, v51, v53
	v_fma_f32 v53, v36, s13, -v55
	v_add_f32_e32 v52, v52, v57
	v_mul_f32_e32 v57, 0x3f7e222b, v45
	v_add_f32_e32 v51, v51, v53
	v_fma_f32 v53, v37, s12, -v56
	v_add_f32_e32 v51, v51, v53
	v_fma_f32 v53, v42, s7, -v57
	v_add_f32_e32 v51, v51, v53
	v_mul_f32_e32 v53, 0xbf29c268, v38
	v_mov_b32_e32 v54, v53
	v_mul_f32_e32 v55, 0x3f7e222b, v39
	v_fmac_f32_e32 v54, 0xbf3f9e67, v4
	v_mov_b32_e32 v56, v55
	v_add_f32_e32 v54, v10, v54
	v_fmac_f32_e32 v56, 0x3df6dbef, v7
	v_add_f32_e32 v54, v54, v56
	v_mul_f32_e32 v56, 0xbf52af12, v40
	v_mov_b32_e32 v58, v57
	v_mov_b32_e32 v57, v56
	v_fmac_f32_e32 v57, 0x3f116cb1, v9
	v_fmac_f32_e32 v58, 0x3df6dbef, v42
	v_add_f32_e32 v54, v54, v57
	v_mul_f32_e32 v57, 0x3e750f2a, v41
	v_add_f32_e32 v52, v52, v58
	v_mov_b32_e32 v58, v57
	v_fmac_f32_e32 v58, 0xbf788fa5, v36
	v_fma_f32 v53, v4, s10, -v53
	v_add_f32_e32 v54, v54, v58
	v_mul_f32_e32 v58, 0x3eedf032, v43
	v_add_f32_e32 v53, v10, v53
	v_fma_f32 v55, v7, s7, -v55
	v_mov_b32_e32 v59, v58
	v_add_f32_e32 v53, v53, v55
	v_fma_f32 v55, v9, s13, -v56
	v_fmac_f32_e32 v59, 0x3f62ad3f, v37
	v_add_f32_e32 v53, v53, v55
	v_fma_f32 v55, v36, s11, -v57
	v_add_f32_e32 v54, v54, v59
	v_mul_f32_e32 v59, 0xbf6f5d39, v45
	v_add_f32_e32 v53, v53, v55
	v_fma_f32 v55, v37, s6, -v58
	v_add_f32_e32 v53, v53, v55
	v_fma_f32 v55, v42, s12, -v59
	v_add_f32_e32 v53, v53, v55
	v_mul_f32_e32 v55, 0xbf6f5d39, v38
	v_mov_b32_e32 v56, v55
	v_mul_f32_e32 v57, 0x3f29c268, v39
	v_fmac_f32_e32 v56, 0xbeb58ec6, v4
	v_mov_b32_e32 v58, v57
	v_add_f32_e32 v56, v10, v56
	v_fmac_f32_e32 v58, 0xbf3f9e67, v7
	v_add_f32_e32 v56, v56, v58
	v_mul_f32_e32 v58, 0x3eedf032, v40
	v_mov_b32_e32 v60, v59
	v_mov_b32_e32 v59, v58
	v_fmac_f32_e32 v59, 0x3f62ad3f, v9
	v_fmac_f32_e32 v60, 0xbeb58ec6, v42
	v_add_f32_e32 v56, v56, v59
	v_mul_f32_e32 v59, 0xbf7e222b, v41
	v_add_f32_e32 v54, v54, v60
	;; [unrolled: 36-line block ×3, first 2 shown]
	v_mov_b32_e32 v62, v61
	v_fmac_f32_e32 v62, 0x3f62ad3f, v36
	v_fma_f32 v57, v4, s7, -v57
	v_add_f32_e32 v58, v58, v62
	v_mul_f32_e32 v62, 0xbf52af12, v43
	v_add_f32_e32 v57, v10, v57
	v_fma_f32 v59, v7, s11, -v59
	v_mov_b32_e32 v63, v62
	v_add_f32_e32 v57, v57, v59
	v_fma_f32 v59, v9, s12, -v60
	v_fmac_f32_e32 v63, 0x3f116cb1, v37
	v_add_f32_e32 v57, v57, v59
	v_fma_f32 v59, v36, s6, -v61
	v_add_f32_e32 v58, v58, v63
	v_mul_f32_e32 v63, 0xbf29c268, v45
	v_add_f32_e32 v57, v57, v59
	v_fma_f32 v59, v37, s13, -v62
	v_add_f32_e32 v57, v57, v59
	v_fma_f32 v59, v42, s10, -v63
	v_add_f32_e32 v57, v57, v59
	v_mul_f32_e32 v59, 0xbf52af12, v38
	v_sub_f32_e32 v44, v44, v59
	v_mul_f32_e32 v59, 0xbf6f5d39, v39
	v_sub_f32_e32 v46, v46, v59
	v_add_f32_e32 v44, v10, v44
	v_add_f32_e32 v44, v44, v46
	v_mul_f32_e32 v46, 0xbe750f2a, v40
	v_sub_f32_e32 v46, v47, v46
	v_add_f32_e32 v44, v44, v46
	v_mul_f32_e32 v46, 0x3f29c268, v41
	v_sub_f32_e32 v46, v48, v46
	;; [unrolled: 3-line block ×4, first 2 shown]
	v_mul_f32_e32 v38, 0xbeedf032, v38
	v_add_f32_e32 v44, v44, v46
	v_mov_b32_e32 v46, v38
	v_mul_f32_e32 v39, 0xbf52af12, v39
	v_fmac_f32_e32 v46, 0x3f62ad3f, v4
	v_mov_b32_e32 v47, v39
	v_fma_f32 v4, v4, s6, -v38
	v_fmac_f32_e32 v47, 0x3f116cb1, v7
	v_mul_f32_e32 v40, 0xbf7e222b, v40
	v_add_f32_e32 v4, v10, v4
	v_fma_f32 v7, v7, s13, -v39
	v_mul_f32_e32 v41, 0xbf6f5d39, v41
	v_add_f32_e32 v4, v4, v7
	v_fma_f32 v7, v9, s7, -v40
	;; [unrolled: 3-line block ×4, first 2 shown]
	v_add_f32_e32 v4, v4, v7
	v_fma_f32 v7, v42, s11, -v45
	v_add_f32_e32 v4, v4, v7
	v_add_f32_e32 v7, v10, v12
	;; [unrolled: 1-line block ×7, first 2 shown]
	v_mov_b32_e32 v47, v40
	v_add_f32_e32 v7, v7, v20
	v_fmac_f32_e32 v47, 0x3df6dbef, v9
	v_add_f32_e32 v7, v7, v22
	v_add_f32_e32 v46, v46, v47
	v_mov_b32_e32 v47, v41
	v_add_f32_e32 v7, v7, v24
	v_fmac_f32_e32 v47, 0xbeb58ec6, v36
	v_add_f32_e32 v7, v26, v7
	v_add_f32_e32 v46, v46, v47
	v_mov_b32_e32 v47, v43
	v_add_f32_e32 v7, v28, v7
	v_fmac_f32_e32 v47, 0xbf3f9e67, v37
	v_add_f32_e32 v7, v30, v7
	v_mov_b32_e32 v64, v63
	v_add_f32_e32 v46, v46, v47
	v_mov_b32_e32 v47, v45
	v_add_f32_e32 v7, v32, v7
	v_mul_u32_u24_e32 v9, 52, v3
	v_fmac_f32_e32 v64, 0xbf3f9e67, v42
	v_fmac_f32_e32 v47, 0xbf788fa5, v42
	v_add_f32_e32 v7, v34, v7
	v_add3_u32 v9, 0, v9, v0
	v_add_f32_e32 v58, v58, v64
	v_add_f32_e32 v46, v46, v47
	ds_write2_b32 v9, v7, v4 offset1:1
	ds_write2_b32 v9, v44, v57 offset0:2 offset1:3
	ds_write2_b32 v9, v55, v53 offset0:4 offset1:5
	;; [unrolled: 1-line block ×5, first 2 shown]
	ds_write_b32 v9, v46 offset:48
.LBB0_12:
	s_or_b64 exec, exec, s[2:3]
	v_sub_f32_e32 v55, v12, v34
	v_add_f32_e32 v54, v13, v35
	v_mul_f32_e32 v56, 0xbf52af12, v55
	v_sub_f32_e32 v52, v14, v32
	v_fma_f32 v4, v54, s13, -v56
	v_add_f32_e32 v51, v15, v33
	v_mul_f32_e32 v53, 0xbf6f5d39, v52
	v_sub_f32_e32 v49, v16, v30
	v_add_f32_e32 v4, v11, v4
	v_fma_f32 v7, v51, s12, -v53
	v_add_f32_e32 v48, v17, v31
	v_mul_f32_e32 v50, 0xbe750f2a, v49
	v_sub_f32_e32 v46, v18, v28
	v_add_f32_e32 v4, v4, v7
	v_fma_f32 v7, v48, s11, -v50
	v_add_f32_e32 v34, v19, v29
	v_mul_f32_e32 v47, 0x3f29c268, v46
	v_sub_f32_e32 v26, v20, v26
	v_add_f32_e32 v4, v4, v7
	v_fma_f32 v7, v34, s10, -v47
	v_add_f32_e32 v30, v21, v27
	v_mul_f32_e32 v32, 0x3f7e222b, v26
	v_add_f32_e32 v4, v4, v7
	v_fma_f32 v7, v30, s7, -v32
	v_add_f32_e32 v10, v4, v7
	v_lshlrev_b32_e32 v4, 2, v3
	v_sub_f32_e32 v20, v22, v24
	v_add_u32_e32 v22, 0, v4
	v_add3_u32 v28, 0, v0, v4
	v_add_u32_e32 v4, v22, v0
	v_add_u32_e32 v9, 0x200, v4
	;; [unrolled: 1-line block ×5, first 2 shown]
	s_waitcnt lgkmcnt(0)
	s_barrier
	ds_read_b32 v7, v28
	ds_read2_b32 v[44:45], v4 offset0:78 offset1:156
	ds_read2_b32 v[42:43], v9 offset0:106 offset1:184
	;; [unrolled: 1-line block ×5, first 2 shown]
	v_add_f32_e32 v18, v23, v25
	v_mul_f32_e32 v24, 0x3eedf032, v20
	v_fma_f32 v57, v18, s6, -v24
	v_add_f32_e32 v10, v10, v57
	s_waitcnt lgkmcnt(0)
	s_barrier
	s_and_saveexec_b64 s[2:3], s[0:1]
	s_cbranch_execz .LBB0_14
; %bb.13:
	v_add_f32_e32 v13, v11, v13
	v_add_f32_e32 v13, v13, v15
	v_add_f32_e32 v13, v13, v17
	v_add_f32_e32 v13, v13, v19
	v_add_f32_e32 v13, v13, v21
	v_add_f32_e32 v13, v13, v23
	v_add_f32_e32 v13, v13, v25
	v_add_f32_e32 v13, v27, v13
	v_add_f32_e32 v13, v29, v13
	v_add_f32_e32 v13, v31, v13
	v_add_f32_e32 v13, v33, v13
	v_mul_f32_e32 v33, 0xbe750f2a, v55
	v_mul_f32_e32 v57, 0x3f116cb1, v54
	v_add_f32_e32 v13, v35, v13
	v_mul_f32_e32 v15, 0xbeedf032, v55
	s_mov_b32 s0, 0x3f62ad3f
	v_mul_f32_e32 v21, 0xbf7e222b, v55
	s_mov_b32 s1, 0x3df6dbef
	;; [unrolled: 2-line block ×4, first 2 shown]
	s_mov_b32 s10, 0xbf788fa5
	v_mov_b32_e32 v35, v33
	v_fma_f32 v17, v54, s0, -v15
	v_fmac_f32_e32 v15, 0x3f62ad3f, v54
	v_add_f32_e32 v19, v57, v56
	v_fma_f32 v23, v54, s1, -v21
	v_fmac_f32_e32 v21, 0x3df6dbef, v54
	v_fma_f32 v27, v54, s6, -v25
	v_fmac_f32_e32 v25, 0xbeb58ec6, v54
	;; [unrolled: 2-line block ×3, first 2 shown]
	v_fmac_f32_e32 v35, 0xbf788fa5, v54
	v_fma_f32 v33, v54, s10, -v33
	v_add_f32_e32 v15, v11, v15
	v_add_f32_e32 v17, v11, v17
	v_add_f32_e32 v19, v11, v19
	v_add_f32_e32 v21, v11, v21
	v_add_f32_e32 v23, v11, v23
	v_add_f32_e32 v25, v11, v25
	v_add_f32_e32 v27, v11, v27
	v_add_f32_e32 v29, v11, v29
	v_add_f32_e32 v31, v11, v31
	v_add_f32_e32 v35, v11, v35
	v_add_f32_e32 v11, v11, v33
	v_mul_f32_e32 v33, 0xbf52af12, v52
	s_mov_b32 s11, 0x3f116cb1
	v_mul_f32_e32 v58, 0xbeb58ec6, v51
	v_fma_f32 v54, v51, s11, -v33
	v_fmac_f32_e32 v33, 0x3f116cb1, v51
	v_add_f32_e32 v15, v15, v33
	v_add_f32_e32 v33, v58, v53
	;; [unrolled: 1-line block ×3, first 2 shown]
	v_mul_f32_e32 v33, 0xbe750f2a, v52
	v_fma_f32 v53, v51, s10, -v33
	v_fmac_f32_e32 v33, 0xbf788fa5, v51
	v_add_f32_e32 v21, v21, v33
	v_mul_f32_e32 v33, 0x3f29c268, v52
	v_add_f32_e32 v23, v23, v53
	v_fma_f32 v53, v51, s7, -v33
	v_fmac_f32_e32 v33, 0xbf3f9e67, v51
	v_add_f32_e32 v25, v25, v33
	v_mul_f32_e32 v33, 0x3f7e222b, v52
	v_add_f32_e32 v27, v27, v53
	v_fma_f32 v53, v51, s1, -v33
	v_fmac_f32_e32 v33, 0x3df6dbef, v51
	v_add_f32_e32 v29, v29, v33
	v_mul_f32_e32 v33, 0x3eedf032, v52
	v_mov_b32_e32 v52, v33
	v_fma_f32 v33, v51, s0, -v33
	v_add_f32_e32 v11, v11, v33
	v_mul_f32_e32 v33, 0xbf7e222b, v49
	v_mul_f32_e32 v59, 0xbf788fa5, v48
	v_fmac_f32_e32 v52, 0x3f62ad3f, v51
	v_fma_f32 v51, v48, s1, -v33
	v_fmac_f32_e32 v33, 0x3df6dbef, v48
	v_add_f32_e32 v15, v15, v33
	v_add_f32_e32 v33, v59, v50
	;; [unrolled: 1-line block ×3, first 2 shown]
	v_mul_f32_e32 v33, 0x3f6f5d39, v49
	v_fma_f32 v50, v48, s6, -v33
	v_fmac_f32_e32 v33, 0xbeb58ec6, v48
	v_add_f32_e32 v21, v21, v33
	v_mul_f32_e32 v33, 0x3eedf032, v49
	v_add_f32_e32 v23, v23, v50
	v_fma_f32 v50, v48, s0, -v33
	v_fmac_f32_e32 v33, 0x3f62ad3f, v48
	v_add_f32_e32 v25, v25, v33
	v_mul_f32_e32 v33, 0xbf52af12, v49
	v_add_f32_e32 v27, v27, v50
	v_fma_f32 v50, v48, s11, -v33
	v_fmac_f32_e32 v33, 0x3f116cb1, v48
	v_add_f32_e32 v29, v29, v33
	v_mul_f32_e32 v33, 0xbf29c268, v49
	v_mov_b32_e32 v49, v33
	v_fma_f32 v33, v48, s7, -v33
	v_add_f32_e32 v11, v11, v33
	v_mul_f32_e32 v33, 0xbf6f5d39, v46
	v_mul_f32_e32 v60, 0xbf3f9e67, v34
	v_fmac_f32_e32 v49, 0xbf3f9e67, v48
	v_fma_f32 v48, v34, s6, -v33
	v_fmac_f32_e32 v33, 0xbeb58ec6, v34
	v_add_f32_e32 v15, v15, v33
	v_add_f32_e32 v33, v60, v47
	;; [unrolled: 1-line block ×3, first 2 shown]
	v_mul_f32_e32 v33, 0x3eedf032, v46
	v_fma_f32 v47, v34, s0, -v33
	v_fmac_f32_e32 v33, 0x3f62ad3f, v34
	v_add_f32_e32 v21, v21, v33
	v_mul_f32_e32 v33, 0xbf7e222b, v46
	v_add_f32_e32 v23, v23, v47
	v_fma_f32 v47, v34, s1, -v33
	v_fmac_f32_e32 v33, 0x3df6dbef, v34
	v_add_f32_e32 v25, v25, v33
	v_mul_f32_e32 v33, 0x3e750f2a, v46
	v_add_f32_e32 v27, v27, v47
	v_fma_f32 v47, v34, s10, -v33
	v_fmac_f32_e32 v33, 0xbf788fa5, v34
	v_add_f32_e32 v29, v29, v33
	v_mul_f32_e32 v33, 0x3f52af12, v46
	v_mul_f32_e32 v61, 0x3df6dbef, v30
	v_mov_b32_e32 v46, v33
	v_fma_f32 v33, v34, s11, -v33
	v_add_f32_e32 v11, v11, v33
	v_mul_f32_e32 v33, 0xbf29c268, v26
	v_add_f32_e32 v32, v61, v32
	v_fmac_f32_e32 v46, 0x3f116cb1, v34
	v_fma_f32 v34, v30, s7, -v33
	v_fmac_f32_e32 v33, 0xbf3f9e67, v30
	v_add_f32_e32 v19, v19, v32
	v_mul_f32_e32 v32, 0xbf52af12, v26
	v_add_f32_e32 v15, v15, v33
	v_fma_f32 v33, v30, s11, -v32
	v_fmac_f32_e32 v32, 0x3f116cb1, v30
	v_add_f32_e32 v21, v21, v32
	v_mul_f32_e32 v32, 0x3e750f2a, v26
	v_add_f32_e32 v23, v23, v33
	;; [unrolled: 5-line block ×3, first 2 shown]
	v_fma_f32 v33, v30, s0, -v32
	v_fmac_f32_e32 v32, 0x3f62ad3f, v30
	v_mul_f32_e32 v26, 0xbf6f5d39, v26
	v_mul_f32_e32 v62, 0x3f62ad3f, v18
	v_add_f32_e32 v29, v29, v32
	v_mov_b32_e32 v32, v26
	v_fma_f32 v26, v30, s6, -v26
	v_add_f32_e32 v11, v11, v26
	v_mul_f32_e32 v26, 0xbe750f2a, v20
	v_add_f32_e32 v24, v62, v24
	v_fmac_f32_e32 v32, 0xbeb58ec6, v30
	v_fma_f32 v30, v18, s10, -v26
	v_fmac_f32_e32 v26, 0xbf788fa5, v18
	v_add_f32_e32 v19, v19, v24
	v_mul_f32_e32 v24, 0xbf29c268, v20
	v_add_f32_e32 v15, v15, v26
	v_fma_f32 v26, v18, s7, -v24
	v_fmac_f32_e32 v24, 0xbf3f9e67, v18
	v_add_f32_e32 v21, v21, v24
	v_mul_f32_e32 v24, 0x3f52af12, v20
	v_add_f32_e32 v23, v23, v26
	v_fma_f32 v26, v18, s11, -v24
	v_fmac_f32_e32 v24, 0x3f116cb1, v18
	v_add_f32_e32 v24, v25, v24
	v_add_f32_e32 v25, v27, v26
	v_mul_f32_e32 v26, 0xbf6f5d39, v20
	v_fma_f32 v27, v18, s6, -v26
	v_fmac_f32_e32 v26, 0xbeb58ec6, v18
	v_mul_f32_e32 v20, 0x3f7e222b, v20
	v_add_f32_e32 v17, v17, v54
	v_add_f32_e32 v31, v31, v53
	;; [unrolled: 1-line block ×4, first 2 shown]
	v_mov_b32_e32 v29, v20
	v_add_f32_e32 v17, v17, v51
	v_add_f32_e32 v31, v31, v50
	;; [unrolled: 1-line block ×3, first 2 shown]
	v_fmac_f32_e32 v29, 0x3df6dbef, v18
	v_fma_f32 v18, v18, s1, -v20
	v_add_f32_e32 v17, v17, v48
	v_add_f32_e32 v31, v31, v47
	;; [unrolled: 1-line block ×4, first 2 shown]
	v_mul_u32_u24_e32 v18, 48, v3
	v_add_f32_e32 v17, v17, v34
	v_add_f32_e32 v31, v31, v33
	v_add_f32_e32 v32, v35, v32
	v_add3_u32 v18, v22, v18, v0
	v_add_f32_e32 v17, v17, v30
	v_add_f32_e32 v27, v31, v27
	;; [unrolled: 1-line block ×3, first 2 shown]
	ds_write2_b32 v18, v13, v15 offset1:1
	ds_write2_b32 v18, v19, v21 offset0:2 offset1:3
	ds_write2_b32 v18, v24, v26 offset0:4 offset1:5
	ds_write2_b32 v18, v29, v11 offset0:6 offset1:7
	ds_write2_b32 v18, v27, v25 offset0:8 offset1:9
	ds_write2_b32 v18, v23, v10 offset0:10 offset1:11
	ds_write_b32 v18, v17 offset:48
.LBB0_14:
	s_or_b64 exec, exec, s[2:3]
	s_movk_i32 s0, 0x4f
	v_mul_lo_u16_sdwa v11, v3, s0 dst_sel:DWORD dst_unused:UNUSED_PAD src0_sel:BYTE_0 src1_sel:DWORD
	v_lshrrev_b16_e32 v67, 10, v11
	v_mul_lo_u16_e32 v11, 13, v67
	v_sub_u16_e32 v68, v3, v11
	v_mov_b32_e32 v11, 10
	v_mul_u32_u24_sdwa v11, v68, v11 dst_sel:DWORD dst_unused:UNUSED_PAD src0_sel:BYTE_0 src1_sel:DWORD
	v_lshlrev_b32_e32 v11, 3, v11
	s_load_dwordx2 s[2:3], s[4:5], 0x0
	s_waitcnt lgkmcnt(0)
	s_barrier
	global_load_dwordx4 v[17:20], v11, s[8:9]
	global_load_dwordx4 v[49:52], v11, s[8:9] offset:16
	global_load_dwordx4 v[53:56], v11, s[8:9] offset:32
	;; [unrolled: 1-line block ×4, first 2 shown]
	ds_read_b32 v25, v28
	ds_read2_b32 v[21:22], v4 offset0:78 offset1:156
	ds_read2_b32 v[26:27], v9 offset0:106 offset1:184
	;; [unrolled: 1-line block ×5, first 2 shown]
	s_mov_b32 s10, 0x3f575c64
	s_mov_b32 s6, 0x3ed4b147
	;; [unrolled: 1-line block ×5, first 2 shown]
	s_movk_i32 s0, 0x23c
	s_waitcnt vmcnt(0) lgkmcnt(0)
	s_barrier
	v_mul_f32_e32 v29, v21, v18
	v_mul_f32_e32 v46, v44, v18
	;; [unrolled: 1-line block ×4, first 2 shown]
	v_fma_f32 v47, v44, v17, -v29
	v_mul_f32_e32 v34, v45, v20
	v_mul_f32_e32 v20, v26, v50
	;; [unrolled: 1-line block ×4, first 2 shown]
	v_fma_f32 v44, v45, v19, -v18
	v_fmac_f32_e32 v15, v11, v53
	v_add_f32_e32 v11, v7, v47
	v_mul_f32_e32 v33, v27, v52
	v_fma_f32 v32, v42, v49, -v20
	v_add_f32_e32 v11, v11, v44
	v_fmac_f32_e32 v30, v26, v49
	v_fma_f32 v26, v43, v51, -v33
	v_add_f32_e32 v11, v11, v32
	v_mul_f32_e32 v23, v43, v52
	v_mul_f32_e32 v52, v12, v56
	v_fmac_f32_e32 v46, v21, v17
	v_fma_f32 v17, v40, v53, -v50
	v_add_f32_e32 v11, v11, v26
	v_mul_f32_e32 v54, v13, v58
	v_fma_f32 v18, v41, v55, -v52
	v_add_f32_e32 v11, v11, v17
	v_mul_f32_e32 v16, v41, v56
	v_mul_f32_e32 v56, v14, v60
	v_fma_f32 v29, v38, v57, -v54
	v_add_f32_e32 v11, v11, v18
	v_mul_f32_e32 v24, v38, v58
	v_mul_f32_e32 v58, v65, v62
	;; [unrolled: 1-line block ×3, first 2 shown]
	v_fma_f32 v33, v39, v59, -v56
	v_add_f32_e32 v11, v11, v29
	v_mul_f32_e32 v31, v39, v60
	v_mul_f32_e32 v35, v36, v62
	;; [unrolled: 1-line block ×3, first 2 shown]
	v_fma_f32 v36, v36, v61, -v58
	v_fmac_f32_e32 v48, v66, v63
	v_add_f32_e32 v11, v11, v33
	v_fmac_f32_e32 v24, v13, v57
	v_fma_f32 v37, v37, v63, -v60
	v_sub_f32_e32 v13, v46, v48
	v_add_f32_e32 v11, v11, v36
	v_fmac_f32_e32 v34, v22, v19
	v_fmac_f32_e32 v16, v12, v55
	;; [unrolled: 1-line block ×4, first 2 shown]
	v_add_f32_e32 v12, v47, v37
	v_mul_f32_e32 v14, 0xbf0a6770, v13
	v_mul_f32_e32 v19, 0xbf68dda4, v13
	;; [unrolled: 1-line block ×4, first 2 shown]
	v_add_f32_e32 v40, v11, v37
	v_mul_f32_e32 v11, 0xbe903f40, v13
	v_fmac_f32_e32 v23, v27, v51
	v_fma_f32 v22, v12, s10, -v14
	v_fmac_f32_e32 v14, 0x3f575c64, v12
	v_fma_f32 v27, v12, s6, -v19
	v_fmac_f32_e32 v19, 0x3ed4b147, v12
	v_fma_f32 v38, v12, s7, -v20
	v_fmac_f32_e32 v20, 0xbe11bafb, v12
	v_fma_f32 v39, v12, s11, -v21
	v_fmac_f32_e32 v21, 0xbf27a4f4, v12
	v_fma_f32 v13, v12, s12, -v11
	v_fmac_f32_e32 v11, 0xbf75a155, v12
	v_sub_f32_e32 v12, v34, v35
	v_add_f32_e32 v22, v7, v22
	v_add_f32_e32 v14, v7, v14
	;; [unrolled: 1-line block ×11, first 2 shown]
	v_mul_f32_e32 v41, 0xbf68dda4, v12
	v_fma_f32 v42, v11, s6, -v41
	v_fmac_f32_e32 v41, 0x3ed4b147, v11
	v_add_f32_e32 v14, v41, v14
	v_mul_f32_e32 v41, 0xbf4178ce, v12
	v_add_f32_e32 v22, v42, v22
	v_fma_f32 v42, v11, s11, -v41
	v_fmac_f32_e32 v41, 0xbf27a4f4, v11
	v_add_f32_e32 v19, v41, v19
	v_mul_f32_e32 v41, 0x3e903f40, v12
	v_add_f32_e32 v27, v42, v27
	;; [unrolled: 5-line block ×3, first 2 shown]
	v_fma_f32 v42, v11, s7, -v41
	v_fmac_f32_e32 v41, 0xbe11bafb, v11
	v_mul_f32_e32 v12, 0x3f0a6770, v12
	v_add_f32_e32 v21, v41, v21
	v_fma_f32 v41, v11, s10, -v12
	v_fmac_f32_e32 v12, 0x3f575c64, v11
	v_add_f32_e32 v7, v12, v7
	v_sub_f32_e32 v12, v30, v31
	v_add_f32_e32 v13, v41, v13
	v_add_f32_e32 v11, v32, v33
	v_mul_f32_e32 v41, 0xbf7d64f0, v12
	v_add_f32_e32 v39, v42, v39
	v_fma_f32 v42, v11, s7, -v41
	v_fmac_f32_e32 v41, 0xbe11bafb, v11
	v_add_f32_e32 v14, v41, v14
	v_mul_f32_e32 v41, 0x3e903f40, v12
	v_add_f32_e32 v22, v42, v22
	v_fma_f32 v42, v11, s12, -v41
	v_fmac_f32_e32 v41, 0xbf75a155, v11
	;; [unrolled: 5-line block ×4, first 2 shown]
	v_mul_f32_e32 v12, 0xbf4178ce, v12
	v_add_f32_e32 v21, v41, v21
	v_fma_f32 v41, v11, s11, -v12
	v_fmac_f32_e32 v12, 0xbf27a4f4, v11
	v_add_f32_e32 v7, v12, v7
	v_sub_f32_e32 v12, v23, v24
	v_add_f32_e32 v13, v41, v13
	v_add_f32_e32 v11, v26, v29
	v_mul_f32_e32 v41, 0xbf4178ce, v12
	v_add_f32_e32 v39, v42, v39
	v_fma_f32 v42, v11, s11, -v41
	v_fmac_f32_e32 v41, 0xbf27a4f4, v11
	v_add_f32_e32 v14, v41, v14
	v_mul_f32_e32 v41, 0x3f7d64f0, v12
	v_add_f32_e32 v22, v42, v22
	v_fma_f32 v42, v11, s7, -v41
	v_fmac_f32_e32 v41, 0xbe11bafb, v11
	;; [unrolled: 5-line block ×4, first 2 shown]
	v_mul_f32_e32 v12, 0x3f68dda4, v12
	v_add_f32_e32 v21, v41, v21
	v_fma_f32 v41, v11, s6, -v12
	v_fmac_f32_e32 v12, 0x3ed4b147, v11
	v_sub_f32_e32 v43, v15, v16
	v_add_f32_e32 v39, v42, v39
	v_add_f32_e32 v11, v12, v7
	;; [unrolled: 1-line block ×3, first 2 shown]
	v_mul_f32_e32 v7, 0xbe903f40, v43
	v_fma_f32 v12, v42, s12, -v7
	v_add_f32_e32 v22, v12, v22
	v_mul_f32_e32 v12, 0x3f0a6770, v43
	v_add_f32_e32 v41, v41, v13
	v_fmac_f32_e32 v7, 0xbf75a155, v42
	v_fma_f32 v13, v42, s10, -v12
	v_fmac_f32_e32 v12, 0x3f575c64, v42
	v_add_f32_e32 v7, v7, v14
	v_add_f32_e32 v14, v12, v19
	v_mul_f32_e32 v12, 0xbf4178ce, v43
	v_add_f32_e32 v27, v13, v27
	v_fma_f32 v13, v42, s11, -v12
	v_fmac_f32_e32 v12, 0xbf27a4f4, v42
	v_add_f32_e32 v19, v13, v38
	v_add_f32_e32 v13, v12, v20
	v_mul_f32_e32 v12, 0x3f68dda4, v43
	v_fma_f32 v20, v42, s6, -v12
	v_fmac_f32_e32 v12, 0x3ed4b147, v42
	v_add_f32_e32 v12, v12, v21
	v_mul_f32_e32 v21, 0xbf7d64f0, v43
	v_fma_f32 v38, v42, s7, -v21
	v_add_f32_e32 v20, v20, v39
	v_add_f32_e32 v39, v38, v41
	v_fmac_f32_e32 v21, 0xbe11bafb, v42
	v_mov_b32_e32 v38, 2
	v_add_f32_e32 v11, v21, v11
	v_mad_u32_u24 v21, v67, s0, 0
	v_lshlrev_b32_sdwa v38, v38, v68 dst_sel:DWORD dst_unused:UNUSED_PAD src0_sel:DWORD src1_sel:BYTE_0
	v_add3_u32 v38, v21, v38, v0
	ds_write2_b32 v38, v40, v22 offset1:13
	ds_write2_b32 v38, v27, v19 offset0:26 offset1:39
	ds_write2_b32 v38, v20, v39 offset0:52 offset1:65
	;; [unrolled: 1-line block ×4, first 2 shown]
	ds_write_b32 v38, v7 offset:520
	v_add_u32_e32 v39, 0x600, v4
	s_waitcnt lgkmcnt(0)
	s_barrier
	ds_read2_b32 v[19:20], v9 offset0:15 offset1:158
	ds_read2_b32 v[21:22], v39 offset0:45 offset1:188
	ds_read_b32 v0, v28
	ds_read_b32 v27, v4 offset:2860
	s_movk_i32 s0, 0x41
	v_cmp_gt_u32_e64 s[0:1], s0, v3
	s_and_saveexec_b64 s[4:5], s[0:1]
	s_cbranch_execz .LBB0_16
; %bb.15:
	v_add_u32_e32 v7, 0x400, v4
	ds_read2_b32 v[13:14], v7 offset0:108 offset1:251
	v_add_u32_e32 v7, 0xa00, v4
	ds_read2_b32 v[11:12], v4 offset0:78 offset1:221
	ds_read2_b32 v[7:8], v7 offset0:10 offset1:153
.LBB0_16:
	s_or_b64 exec, exec, s[4:5]
	v_add_f32_e32 v9, v25, v46
	v_add_f32_e32 v9, v9, v34
	;; [unrolled: 1-line block ×9, first 2 shown]
	v_sub_f32_e32 v37, v47, v37
	v_add_f32_e32 v40, v9, v48
	v_add_f32_e32 v9, v46, v48
	v_mul_f32_e32 v41, 0xbf0a6770, v37
	v_mul_f32_e32 v43, 0xbf68dda4, v37
	;; [unrolled: 1-line block ×5, first 2 shown]
	v_mov_b32_e32 v42, v41
	v_mov_b32_e32 v45, v43
	;; [unrolled: 1-line block ×5, first 2 shown]
	v_fmac_f32_e32 v42, 0x3f575c64, v9
	v_fma_f32 v41, v9, s10, -v41
	v_fmac_f32_e32 v45, 0x3ed4b147, v9
	v_fma_f32 v43, v9, s6, -v43
	v_fmac_f32_e32 v47, 0xbe11bafb, v9
	v_fma_f32 v46, v9, s7, -v46
	v_fmac_f32_e32 v49, 0xbf27a4f4, v9
	v_fma_f32 v48, v9, s11, -v48
	v_fmac_f32_e32 v50, 0xbf75a155, v9
	v_fma_f32 v9, v9, s12, -v37
	v_add_f32_e32 v42, v25, v42
	v_add_f32_e32 v41, v25, v41
	;; [unrolled: 1-line block ×11, first 2 shown]
	v_sub_f32_e32 v34, v44, v36
	v_mul_f32_e32 v35, 0xbf68dda4, v34
	v_mov_b32_e32 v36, v35
	v_fmac_f32_e32 v36, 0x3ed4b147, v25
	v_fma_f32 v35, v25, s6, -v35
	v_mul_f32_e32 v37, 0xbf4178ce, v34
	v_add_f32_e32 v36, v36, v42
	v_add_f32_e32 v35, v35, v41
	v_mov_b32_e32 v41, v37
	v_fma_f32 v37, v25, s11, -v37
	v_mul_f32_e32 v42, 0x3e903f40, v34
	v_fmac_f32_e32 v41, 0xbf27a4f4, v25
	v_add_f32_e32 v37, v37, v43
	v_mov_b32_e32 v43, v42
	v_fma_f32 v42, v25, s12, -v42
	v_mul_f32_e32 v44, 0x3f7d64f0, v34
	v_mul_f32_e32 v34, 0x3f0a6770, v34
	v_add_f32_e32 v41, v41, v45
	v_add_f32_e32 v42, v42, v46
	v_mov_b32_e32 v45, v44
	v_mov_b32_e32 v46, v34
	v_fmac_f32_e32 v43, 0xbf75a155, v25
	v_fmac_f32_e32 v45, 0xbe11bafb, v25
	v_fma_f32 v44, v25, s7, -v44
	v_fmac_f32_e32 v46, 0x3f575c64, v25
	v_fma_f32 v25, v25, s10, -v34
	v_add_f32_e32 v9, v25, v9
	v_add_f32_e32 v25, v30, v31
	v_sub_f32_e32 v30, v32, v33
	v_mul_f32_e32 v31, 0xbf7d64f0, v30
	v_mov_b32_e32 v32, v31
	v_fma_f32 v31, v25, s7, -v31
	v_mul_f32_e32 v33, 0x3e903f40, v30
	v_fmac_f32_e32 v32, 0xbe11bafb, v25
	v_add_f32_e32 v31, v31, v35
	v_mov_b32_e32 v34, v33
	v_fma_f32 v33, v25, s12, -v33
	v_mul_f32_e32 v35, 0x3f68dda4, v30
	v_add_f32_e32 v32, v32, v36
	v_fmac_f32_e32 v34, 0xbf75a155, v25
	v_add_f32_e32 v33, v33, v37
	v_mov_b32_e32 v36, v35
	v_fma_f32 v35, v25, s6, -v35
	v_mul_f32_e32 v37, 0xbf0a6770, v30
	v_mul_f32_e32 v30, 0xbf4178ce, v30
	v_add_f32_e32 v34, v34, v41
	v_add_f32_e32 v35, v35, v42
	v_mov_b32_e32 v41, v37
	v_mov_b32_e32 v42, v30
	v_fmac_f32_e32 v36, 0x3ed4b147, v25
	v_fmac_f32_e32 v41, 0x3f575c64, v25
	v_fma_f32 v37, v25, s10, -v37
	v_fmac_f32_e32 v42, 0xbf27a4f4, v25
	v_fma_f32 v25, v25, s11, -v30
	v_add_f32_e32 v23, v23, v24
	v_sub_f32_e32 v24, v26, v29
	v_add_f32_e32 v9, v25, v9
	v_mul_f32_e32 v25, 0xbf4178ce, v24
	v_mov_b32_e32 v26, v25
	v_fma_f32 v25, v23, s11, -v25
	v_mul_f32_e32 v29, 0x3f7d64f0, v24
	v_fmac_f32_e32 v26, 0xbf27a4f4, v23
	v_add_f32_e32 v25, v25, v31
	v_mov_b32_e32 v30, v29
	v_fma_f32 v29, v23, s7, -v29
	v_mul_f32_e32 v31, 0xbf0a6770, v24
	v_add_f32_e32 v26, v26, v32
	v_fmac_f32_e32 v30, 0xbe11bafb, v23
	v_add_f32_e32 v29, v29, v33
	v_mov_b32_e32 v32, v31
	v_fma_f32 v31, v23, s10, -v31
	v_mul_f32_e32 v33, 0xbe903f40, v24
	v_mul_f32_e32 v24, 0x3f68dda4, v24
	v_add_f32_e32 v30, v30, v34
	v_add_f32_e32 v31, v31, v35
	v_mov_b32_e32 v34, v33
	v_mov_b32_e32 v35, v24
	v_fmac_f32_e32 v32, 0x3f575c64, v23
	v_fmac_f32_e32 v34, 0xbf75a155, v23
	v_fma_f32 v33, v23, s12, -v33
	v_fmac_f32_e32 v35, 0x3ed4b147, v23
	v_fma_f32 v23, v23, s6, -v24
	v_sub_f32_e32 v24, v17, v18
	v_add_f32_e32 v23, v23, v9
	v_mul_f32_e32 v9, 0xbe903f40, v24
	v_add_f32_e32 v15, v15, v16
	v_mov_b32_e32 v16, v9
	v_fmac_f32_e32 v16, 0xbf75a155, v15
	v_add_f32_e32 v26, v16, v26
	v_mul_f32_e32 v16, 0x3f0a6770, v24
	v_mov_b32_e32 v17, v16
	v_fma_f32 v16, v15, s10, -v16
	v_add_f32_e32 v43, v43, v47
	v_fma_f32 v9, v15, s12, -v9
	v_fmac_f32_e32 v17, 0x3f575c64, v15
	v_add_f32_e32 v18, v16, v29
	v_mul_f32_e32 v16, 0xbf4178ce, v24
	v_add_f32_e32 v36, v36, v43
	v_add_f32_e32 v9, v9, v25
	v_add_f32_e32 v25, v17, v30
	v_mov_b32_e32 v17, v16
	v_add_f32_e32 v32, v32, v36
	v_fmac_f32_e32 v17, 0xbf27a4f4, v15
	v_fma_f32 v16, v15, s11, -v16
	v_add_f32_e32 v29, v17, v32
	v_add_f32_e32 v17, v16, v31
	v_mul_f32_e32 v16, 0x3f68dda4, v24
	v_mul_f32_e32 v24, 0xbf7d64f0, v24
	v_add_f32_e32 v45, v45, v49
	v_add_f32_e32 v44, v44, v48
	;; [unrolled: 1-line block ×3, first 2 shown]
	v_mov_b32_e32 v30, v16
	v_mov_b32_e32 v31, v24
	v_add_f32_e32 v41, v41, v45
	v_add_f32_e32 v37, v37, v44
	;; [unrolled: 1-line block ×3, first 2 shown]
	v_fmac_f32_e32 v30, 0x3ed4b147, v15
	v_fma_f32 v16, v15, s6, -v16
	v_fmac_f32_e32 v31, 0xbe11bafb, v15
	v_fma_f32 v15, v15, s7, -v24
	v_add_f32_e32 v34, v34, v41
	v_add_f32_e32 v33, v33, v37
	;; [unrolled: 1-line block ×4, first 2 shown]
	v_add_u32_e32 v23, 0x200, v4
	v_add_f32_e32 v30, v30, v34
	v_add_f32_e32 v16, v16, v33
	v_add_f32_e32 v31, v31, v35
	s_waitcnt lgkmcnt(0)
	s_barrier
	ds_write2_b32 v38, v40, v26 offset1:13
	ds_write2_b32 v38, v25, v29 offset0:26 offset1:39
	ds_write2_b32 v38, v30, v31 offset0:52 offset1:65
	;; [unrolled: 1-line block ×4, first 2 shown]
	ds_write_b32 v38, v9 offset:520
	s_waitcnt lgkmcnt(0)
	s_barrier
	ds_read2_b32 v[23:24], v23 offset0:15 offset1:158
	ds_read2_b32 v[25:26], v39 offset0:45 offset1:188
	ds_read_b32 v28, v28
	ds_read_b32 v29, v4 offset:2860
	s_and_saveexec_b64 s[4:5], s[0:1]
	s_cbranch_execz .LBB0_18
; %bb.17:
	ds_read2_b32 v[15:16], v4 offset0:78 offset1:221
	v_add_u32_e32 v9, 0x400, v4
	v_add_u32_e32 v4, 0xa00, v4
	ds_read2_b32 v[17:18], v9 offset0:108 offset1:251
	ds_read2_b32 v[9:10], v4 offset0:10 offset1:153
.LBB0_18:
	s_or_b64 exec, exec, s[4:5]
	s_and_saveexec_b64 s[4:5], vcc
	s_cbranch_execz .LBB0_21
; %bb.19:
	v_mul_u32_u24_e32 v4, 5, v3
	v_lshlrev_b32_e32 v4, 3, v4
	global_load_dwordx4 v[30:33], v4, s[8:9] offset:1040
	global_load_dwordx4 v[34:37], v4, s[8:9] offset:1056
	global_load_dwordx2 v[38:39], v4, s[8:9] offset:1072
	v_mul_lo_u32 v40, s3, v5
	v_mul_lo_u32 v41, s2, v6
	v_mad_u64_u32 v[5:6], s[2:3], s2, v5, 0
	v_mov_b32_e32 v42, s15
	v_lshlrev_b64 v[1:2], 3, v[1:2]
	v_add3_u32 v6, v6, v41, v40
	v_lshlrev_b64 v[5:6], 3, v[5:6]
	v_mov_b32_e32 v4, 0
	v_add_co_u32_e32 v40, vcc, s14, v5
	v_addc_co_u32_e32 v41, vcc, v42, v6, vcc
	s_waitcnt vmcnt(2) lgkmcnt(3)
	v_mul_f32_e32 v5, v24, v33
	s_waitcnt vmcnt(1) lgkmcnt(2)
	v_mul_f32_e32 v43, v25, v35
	;; [unrolled: 2-line block ×3, first 2 shown]
	v_mul_f32_e32 v35, v21, v35
	v_mul_f32_e32 v39, v27, v39
	;; [unrolled: 1-line block ×6, first 2 shown]
	v_fma_f32 v5, v20, v32, -v5
	v_fma_f32 v20, v21, v34, -v43
	;; [unrolled: 1-line block ×3, first 2 shown]
	v_fmac_f32_e32 v35, v25, v34
	v_fmac_f32_e32 v39, v29, v38
	v_mul_f32_e32 v37, v22, v37
	v_fma_f32 v6, v22, v36, -v6
	v_fmac_f32_e32 v33, v24, v32
	v_fma_f32 v19, v19, v30, -v42
	v_fmac_f32_e32 v31, v23, v30
	v_add_f32_e32 v24, v20, v21
	v_add_f32_e32 v27, v35, v39
	v_fmac_f32_e32 v37, v26, v36
	v_sub_f32_e32 v25, v35, v39
	v_sub_f32_e32 v26, v20, v21
	v_add_f32_e32 v32, v5, v6
	v_fma_f32 v24, -0.5, v24, v19
	v_fma_f32 v27, -0.5, v27, v31
	v_sub_f32_e32 v22, v5, v6
	v_add_f32_e32 v23, v33, v37
	v_add_f32_e32 v30, v31, v35
	;; [unrolled: 1-line block ×3, first 2 shown]
	v_fma_f32 v0, -0.5, v32, v0
	v_mov_b32_e32 v31, v24
	v_mov_b32_e32 v32, v27
	v_fmac_f32_e32 v27, 0xbf5db3d7, v26
	v_fmac_f32_e32 v24, 0x3f5db3d7, v25
	v_add_f32_e32 v29, v28, v33
	v_sub_f32_e32 v33, v33, v37
	v_add_f32_e32 v20, v19, v20
	v_fma_f32 v23, -0.5, v23, v28
	v_fmac_f32_e32 v31, 0xbf5db3d7, v25
	v_fmac_f32_e32 v32, 0x3f5db3d7, v26
	v_mul_f32_e32 v25, 0xbf5db3d7, v24
	v_mul_f32_e32 v26, 0x3f5db3d7, v27
	v_add_f32_e32 v19, v29, v37
	v_add_f32_e32 v28, v30, v39
	;; [unrolled: 1-line block ×4, first 2 shown]
	v_mov_b32_e32 v30, v23
	v_fmac_f32_e32 v23, 0xbf5db3d7, v22
	v_mov_b32_e32 v34, v0
	v_fmac_f32_e32 v0, 0x3f5db3d7, v33
	v_fmac_f32_e32 v25, 0.5, v27
	v_fmac_f32_e32 v26, 0.5, v24
	v_sub_f32_e32 v6, v19, v28
	v_sub_f32_e32 v5, v29, v21
	v_add_f32_e32 v20, v19, v28
	v_add_f32_e32 v19, v29, v21
	v_fmac_f32_e32 v30, 0x3f5db3d7, v22
	v_sub_f32_e32 v22, v23, v25
	v_sub_f32_e32 v21, v0, v26
	v_add_f32_e32 v24, v23, v25
	v_add_f32_e32 v23, v0, v26
	v_add_co_u32_e32 v29, vcc, v40, v1
	v_lshlrev_b64 v[0:1], 3, v[3:4]
	v_addc_co_u32_e32 v2, vcc, v41, v2, vcc
	v_mul_f32_e32 v28, -0.5, v32
	v_mul_f32_e32 v27, -0.5, v31
	v_add_co_u32_e32 v0, vcc, v29, v0
	v_fmac_f32_e32 v34, 0xbf5db3d7, v33
	v_fmac_f32_e32 v28, 0xbf5db3d7, v31
	v_fmac_f32_e32 v27, 0x3f5db3d7, v32
	v_addc_co_u32_e32 v1, vcc, v2, v1, vcc
	v_sub_f32_e32 v26, v30, v28
	v_sub_f32_e32 v25, v34, v27
	v_add_f32_e32 v28, v30, v28
	v_add_f32_e32 v27, v34, v27
	global_store_dwordx2 v[0:1], v[19:20], off
	global_store_dwordx2 v[0:1], v[23:24], off offset:1144
	global_store_dwordx2 v[0:1], v[27:28], off offset:2288
	;; [unrolled: 1-line block ×3, first 2 shown]
	v_add_co_u32_e32 v5, vcc, 0x1000, v0
	v_addc_co_u32_e32 v6, vcc, 0, v1, vcc
	global_store_dwordx2 v[5:6], v[21:22], off offset:480
	global_store_dwordx2 v[5:6], v[25:26], off offset:1624
	s_and_b64 exec, exec, s[0:1]
	s_cbranch_execz .LBB0_21
; %bb.20:
	v_not_b32_e32 v2, 64
	v_mov_b32_e32 v5, 0x4e
	v_cndmask_b32_e64 v2, v2, v5, s[0:1]
	v_add_u32_e32 v2, v3, v2
	v_mul_i32_i24_e32 v3, 5, v2
	v_lshlrev_b64 v[2:3], 3, v[3:4]
	v_mov_b32_e32 v4, s9
	v_add_co_u32_e32 v23, vcc, s8, v2
	v_addc_co_u32_e32 v24, vcc, v4, v3, vcc
	global_load_dwordx4 v[2:5], v[23:24], off offset:1040
	global_load_dwordx4 v[19:22], v[23:24], off offset:1056
	global_load_dwordx2 v[25:26], v[23:24], off offset:1072
	v_add_co_u32_e32 v23, vcc, 0x1000, v0
	v_addc_co_u32_e32 v24, vcc, 0, v1, vcc
	s_waitcnt vmcnt(2)
	v_mul_f32_e32 v6, v16, v3
	v_mul_f32_e32 v27, v12, v3
	;; [unrolled: 1-line block ×4, first 2 shown]
	s_waitcnt vmcnt(1)
	v_mul_f32_e32 v28, v18, v20
	v_mul_f32_e32 v20, v14, v20
	;; [unrolled: 1-line block ×3, first 2 shown]
	s_waitcnt vmcnt(0)
	v_mul_f32_e32 v30, v10, v26
	v_mul_f32_e32 v26, v8, v26
	;; [unrolled: 1-line block ×3, first 2 shown]
	v_fma_f32 v6, v12, v2, -v6
	v_fmac_f32_e32 v27, v16, v2
	v_fma_f32 v2, v13, v4, -v3
	v_fmac_f32_e32 v5, v17, v4
	;; [unrolled: 2-line block ×3, first 2 shown]
	v_fma_f32 v4, v7, v21, -v29
	v_fma_f32 v7, v8, v25, -v30
	v_fmac_f32_e32 v26, v10, v25
	v_fmac_f32_e32 v22, v9, v21
	v_add_f32_e32 v14, v3, v7
	v_add_f32_e32 v18, v20, v26
	v_add_f32_e32 v8, v11, v2
	v_add_f32_e32 v9, v2, v4
	v_sub_f32_e32 v10, v5, v22
	v_add_f32_e32 v12, v15, v5
	v_add_f32_e32 v5, v5, v22
	v_sub_f32_e32 v13, v2, v4
	v_add_f32_e32 v2, v6, v3
	v_sub_f32_e32 v16, v20, v26
	;; [unrolled: 2-line block ×3, first 2 shown]
	v_fmac_f32_e32 v6, -0.5, v14
	v_fmac_f32_e32 v27, -0.5, v18
	v_add_f32_e32 v4, v8, v4
	v_fmac_f32_e32 v11, -0.5, v9
	v_add_f32_e32 v8, v12, v22
	;; [unrolled: 2-line block ×3, first 2 shown]
	v_add_f32_e32 v7, v17, v26
	v_mov_b32_e32 v14, v6
	v_fmac_f32_e32 v6, 0xbf5db3d7, v16
	v_mov_b32_e32 v17, v27
	v_fmac_f32_e32 v27, 0x3f5db3d7, v19
	v_mov_b32_e32 v9, v11
	v_mov_b32_e32 v12, v15
	v_add_f32_e32 v2, v4, v5
	v_add_f32_e32 v3, v8, v7
	v_sub_f32_e32 v4, v4, v5
	v_sub_f32_e32 v5, v8, v7
	v_fmac_f32_e32 v14, 0x3f5db3d7, v16
	v_fmac_f32_e32 v17, 0xbf5db3d7, v19
	v_mul_f32_e32 v7, -0.5, v6
	v_mul_f32_e32 v8, -0.5, v27
	v_fmac_f32_e32 v11, 0xbf5db3d7, v10
	v_fmac_f32_e32 v15, 0x3f5db3d7, v13
	v_fmac_f32_e32 v9, 0x3f5db3d7, v10
	v_fmac_f32_e32 v12, 0xbf5db3d7, v13
	v_mul_f32_e32 v10, 0x3f5db3d7, v17
	v_fmac_f32_e32 v7, 0x3f5db3d7, v27
	v_mul_f32_e32 v13, 0xbf5db3d7, v14
	v_fmac_f32_e32 v8, 0xbf5db3d7, v6
	global_store_dwordx2 v[0:1], v[2:3], off offset:624
	global_store_dwordx2 v[0:1], v[4:5], off offset:4056
	v_fmac_f32_e32 v10, 0.5, v14
	v_add_f32_e32 v2, v11, v7
	v_fmac_f32_e32 v13, 0.5, v17
	v_add_f32_e32 v3, v15, v8
	v_sub_f32_e32 v4, v11, v7
	v_sub_f32_e32 v5, v15, v8
	v_add_f32_e32 v6, v9, v10
	v_add_f32_e32 v7, v12, v13
	v_sub_f32_e32 v8, v9, v10
	v_sub_f32_e32 v9, v12, v13
	global_store_dwordx2 v[0:1], v[2:3], off offset:2912
	global_store_dwordx2 v[0:1], v[6:7], off offset:1768
	global_store_dwordx2 v[23:24], v[8:9], off offset:1104
	global_store_dwordx2 v[23:24], v[4:5], off offset:2248
.LBB0_21:
	s_endpgm
	.section	.rodata,"a",@progbits
	.p2align	6, 0x0
	.amdhsa_kernel fft_rtc_fwd_len858_factors_13_11_6_wgs_234_tpt_78_halfLds_sp_op_CI_CI_unitstride_sbrr_dirReg
		.amdhsa_group_segment_fixed_size 0
		.amdhsa_private_segment_fixed_size 0
		.amdhsa_kernarg_size 104
		.amdhsa_user_sgpr_count 6
		.amdhsa_user_sgpr_private_segment_buffer 1
		.amdhsa_user_sgpr_dispatch_ptr 0
		.amdhsa_user_sgpr_queue_ptr 0
		.amdhsa_user_sgpr_kernarg_segment_ptr 1
		.amdhsa_user_sgpr_dispatch_id 0
		.amdhsa_user_sgpr_flat_scratch_init 0
		.amdhsa_user_sgpr_private_segment_size 0
		.amdhsa_uses_dynamic_stack 0
		.amdhsa_system_sgpr_private_segment_wavefront_offset 0
		.amdhsa_system_sgpr_workgroup_id_x 1
		.amdhsa_system_sgpr_workgroup_id_y 0
		.amdhsa_system_sgpr_workgroup_id_z 0
		.amdhsa_system_sgpr_workgroup_info 0
		.amdhsa_system_vgpr_workitem_id 0
		.amdhsa_next_free_vgpr 69
		.amdhsa_next_free_sgpr 28
		.amdhsa_reserve_vcc 1
		.amdhsa_reserve_flat_scratch 0
		.amdhsa_float_round_mode_32 0
		.amdhsa_float_round_mode_16_64 0
		.amdhsa_float_denorm_mode_32 3
		.amdhsa_float_denorm_mode_16_64 3
		.amdhsa_dx10_clamp 1
		.amdhsa_ieee_mode 1
		.amdhsa_fp16_overflow 0
		.amdhsa_exception_fp_ieee_invalid_op 0
		.amdhsa_exception_fp_denorm_src 0
		.amdhsa_exception_fp_ieee_div_zero 0
		.amdhsa_exception_fp_ieee_overflow 0
		.amdhsa_exception_fp_ieee_underflow 0
		.amdhsa_exception_fp_ieee_inexact 0
		.amdhsa_exception_int_div_zero 0
	.end_amdhsa_kernel
	.text
.Lfunc_end0:
	.size	fft_rtc_fwd_len858_factors_13_11_6_wgs_234_tpt_78_halfLds_sp_op_CI_CI_unitstride_sbrr_dirReg, .Lfunc_end0-fft_rtc_fwd_len858_factors_13_11_6_wgs_234_tpt_78_halfLds_sp_op_CI_CI_unitstride_sbrr_dirReg
                                        ; -- End function
	.section	.AMDGPU.csdata,"",@progbits
; Kernel info:
; codeLenInByte = 8260
; NumSgprs: 32
; NumVgprs: 69
; ScratchSize: 0
; MemoryBound: 0
; FloatMode: 240
; IeeeMode: 1
; LDSByteSize: 0 bytes/workgroup (compile time only)
; SGPRBlocks: 3
; VGPRBlocks: 17
; NumSGPRsForWavesPerEU: 32
; NumVGPRsForWavesPerEU: 69
; Occupancy: 3
; WaveLimiterHint : 1
; COMPUTE_PGM_RSRC2:SCRATCH_EN: 0
; COMPUTE_PGM_RSRC2:USER_SGPR: 6
; COMPUTE_PGM_RSRC2:TRAP_HANDLER: 0
; COMPUTE_PGM_RSRC2:TGID_X_EN: 1
; COMPUTE_PGM_RSRC2:TGID_Y_EN: 0
; COMPUTE_PGM_RSRC2:TGID_Z_EN: 0
; COMPUTE_PGM_RSRC2:TIDIG_COMP_CNT: 0
	.type	__hip_cuid_2497bb4792315c58,@object ; @__hip_cuid_2497bb4792315c58
	.section	.bss,"aw",@nobits
	.globl	__hip_cuid_2497bb4792315c58
__hip_cuid_2497bb4792315c58:
	.byte	0                               ; 0x0
	.size	__hip_cuid_2497bb4792315c58, 1

	.ident	"AMD clang version 19.0.0git (https://github.com/RadeonOpenCompute/llvm-project roc-6.4.0 25133 c7fe45cf4b819c5991fe208aaa96edf142730f1d)"
	.section	".note.GNU-stack","",@progbits
	.addrsig
	.addrsig_sym __hip_cuid_2497bb4792315c58
	.amdgpu_metadata
---
amdhsa.kernels:
  - .args:
      - .actual_access:  read_only
        .address_space:  global
        .offset:         0
        .size:           8
        .value_kind:     global_buffer
      - .offset:         8
        .size:           8
        .value_kind:     by_value
      - .actual_access:  read_only
        .address_space:  global
        .offset:         16
        .size:           8
        .value_kind:     global_buffer
      - .actual_access:  read_only
        .address_space:  global
        .offset:         24
        .size:           8
        .value_kind:     global_buffer
      - .actual_access:  read_only
        .address_space:  global
        .offset:         32
        .size:           8
        .value_kind:     global_buffer
      - .offset:         40
        .size:           8
        .value_kind:     by_value
      - .actual_access:  read_only
        .address_space:  global
        .offset:         48
        .size:           8
        .value_kind:     global_buffer
      - .actual_access:  read_only
        .address_space:  global
        .offset:         56
        .size:           8
        .value_kind:     global_buffer
      - .offset:         64
        .size:           4
        .value_kind:     by_value
      - .actual_access:  read_only
        .address_space:  global
        .offset:         72
        .size:           8
        .value_kind:     global_buffer
      - .actual_access:  read_only
        .address_space:  global
        .offset:         80
        .size:           8
        .value_kind:     global_buffer
      - .actual_access:  read_only
        .address_space:  global
        .offset:         88
        .size:           8
        .value_kind:     global_buffer
      - .actual_access:  write_only
        .address_space:  global
        .offset:         96
        .size:           8
        .value_kind:     global_buffer
    .group_segment_fixed_size: 0
    .kernarg_segment_align: 8
    .kernarg_segment_size: 104
    .language:       OpenCL C
    .language_version:
      - 2
      - 0
    .max_flat_workgroup_size: 234
    .name:           fft_rtc_fwd_len858_factors_13_11_6_wgs_234_tpt_78_halfLds_sp_op_CI_CI_unitstride_sbrr_dirReg
    .private_segment_fixed_size: 0
    .sgpr_count:     32
    .sgpr_spill_count: 0
    .symbol:         fft_rtc_fwd_len858_factors_13_11_6_wgs_234_tpt_78_halfLds_sp_op_CI_CI_unitstride_sbrr_dirReg.kd
    .uniform_work_group_size: 1
    .uses_dynamic_stack: false
    .vgpr_count:     69
    .vgpr_spill_count: 0
    .wavefront_size: 64
amdhsa.target:   amdgcn-amd-amdhsa--gfx906
amdhsa.version:
  - 1
  - 2
...

	.end_amdgpu_metadata
